;; amdgpu-corpus repo=ROCm/rocFFT kind=compiled arch=gfx1030 opt=O3
	.text
	.amdgcn_target "amdgcn-amd-amdhsa--gfx1030"
	.amdhsa_code_object_version 6
	.protected	bluestein_single_fwd_len88_dim1_dp_op_CI_CI ; -- Begin function bluestein_single_fwd_len88_dim1_dp_op_CI_CI
	.globl	bluestein_single_fwd_len88_dim1_dp_op_CI_CI
	.p2align	8
	.type	bluestein_single_fwd_len88_dim1_dp_op_CI_CI,@function
bluestein_single_fwd_len88_dim1_dp_op_CI_CI: ; @bluestein_single_fwd_len88_dim1_dp_op_CI_CI
; %bb.0:
	s_load_dwordx4 s[0:3], s[4:5], 0x28
	v_mul_u32_u24_e32 v1, 0x1746, v0
	v_lshrrev_b32_e32 v1, 16, v1
	v_mad_u64_u32 v[72:73], null, s6, 11, v[1:2]
	v_mov_b32_e32 v73, 0
	s_waitcnt lgkmcnt(0)
	v_cmp_gt_u64_e32 vcc_lo, s[0:1], v[72:73]
	s_and_saveexec_b32 s0, vcc_lo
	s_cbranch_execz .LBB0_15
; %bb.1:
	v_mul_hi_u32 v2, 0xba2e8ba3, v72
	v_mul_lo_u16 v1, v1, 11
	s_clause 0x1
	s_load_dwordx2 s[12:13], s[4:5], 0x0
	s_load_dwordx2 s[6:7], s[4:5], 0x38
	v_sub_nc_u16 v0, v0, v1
	v_lshrrev_b32_e32 v2, 3, v2
	v_and_b32_e32 v157, 0xffff, v0
	v_cmp_gt_u16_e32 vcc_lo, 8, v0
	v_mul_lo_u32 v2, v2, 11
	v_lshlrev_b32_e32 v168, 4, v157
	v_or_b32_e32 v158, 8, v157
	v_or_b32_e32 v159, 16, v157
	;; [unrolled: 1-line block ×4, first 2 shown]
	v_sub_nc_u32_e32 v1, v72, v2
	v_or_b32_e32 v162, 40, v157
	v_or_b32_e32 v163, 48, v157
	;; [unrolled: 1-line block ×4, first 2 shown]
	v_mul_u32_u24_e32 v172, 0x58, v1
	v_or_b32_e32 v166, 0x48, v157
	v_or_b32_e32 v167, 0x50, v157
	;; [unrolled: 1-line block ×3, first 2 shown]
	v_lshlrev_b32_e32 v169, 4, v0
	s_and_saveexec_b32 s1, vcc_lo
	s_cbranch_execz .LBB0_3
; %bb.2:
	s_load_dwordx2 s[8:9], s[4:5], 0x18
	s_waitcnt lgkmcnt(0)
	s_load_dwordx4 s[8:11], s[8:9], 0x0
	s_clause 0x3
	global_load_dwordx4 v[0:3], v168, s[12:13]
	global_load_dwordx4 v[4:7], v168, s[12:13] offset:128
	global_load_dwordx4 v[8:11], v168, s[12:13] offset:256
	;; [unrolled: 1-line block ×3, first 2 shown]
	s_waitcnt lgkmcnt(0)
	v_mad_u64_u32 v[16:17], null, s10, v72, 0
	v_mad_u64_u32 v[18:19], null, s8, v157, 0
	;; [unrolled: 1-line block ×9, first 2 shown]
	v_mov_b32_e32 v17, v30
	v_mad_u64_u32 v[28:29], null, s8, v162, 0
	v_mad_u64_u32 v[33:34], null, s9, v159, v[23:24]
	v_mov_b32_e32 v19, v31
	v_lshlrev_b64 v[16:17], 4, v[16:17]
	v_mad_u64_u32 v[34:35], null, s9, v160, v[25:26]
	v_mov_b32_e32 v21, v32
	v_mad_u64_u32 v[35:36], null, s9, v161, v[27:28]
	v_lshlrev_b64 v[18:19], 4, v[18:19]
	v_mov_b32_e32 v23, v33
	v_add_co_u32 v75, s0, s2, v16
	v_mad_u64_u32 v[36:37], null, s9, v162, v[29:30]
	v_lshlrev_b64 v[20:21], 4, v[20:21]
	v_add_co_ci_u32_e64 v76, s0, s3, v17, s0
	v_mov_b32_e32 v25, v34
	v_lshlrev_b64 v[22:23], 4, v[22:23]
	v_add_co_u32 v16, s0, v75, v18
	v_mov_b32_e32 v27, v35
	v_add_co_ci_u32_e64 v17, s0, v76, v19, s0
	v_lshlrev_b64 v[24:25], 4, v[24:25]
	v_add_co_u32 v20, s0, v75, v20
	v_mov_b32_e32 v29, v36
	v_add_co_ci_u32_e64 v21, s0, v76, v21, s0
	v_lshlrev_b64 v[32:33], 4, v[26:27]
	v_add_co_u32 v26, s0, v75, v22
	v_mad_u64_u32 v[48:49], null, s8, v163, 0
	v_add_co_ci_u32_e64 v27, s0, v76, v23, s0
	v_add_co_u32 v30, s0, v75, v24
	v_lshlrev_b64 v[34:35], 4, v[28:29]
	v_add_co_ci_u32_e64 v31, s0, v76, v25, s0
	v_add_co_u32 v32, s0, v75, v32
	v_mad_u64_u32 v[50:51], null, s8, v164, 0
	v_add_co_ci_u32_e64 v33, s0, v76, v33, s0
	v_mov_b32_e32 v36, v49
	v_add_co_u32 v37, s0, v75, v34
	v_mad_u64_u32 v[52:53], null, s8, v165, 0
	v_mad_u64_u32 v[56:57], null, s8, v166, 0
	;; [unrolled: 1-line block ×3, first 2 shown]
	v_mov_b32_e32 v41, v51
	v_mad_u64_u32 v[68:69], null, s8, v167, 0
	v_add_co_ci_u32_e64 v38, s0, v76, v35, s0
	v_mad_u64_u32 v[54:55], null, s9, v164, v[41:42]
	v_mov_b32_e32 v49, v40
	s_clause 0x5
	global_load_dwordx4 v[16:19], v[16:17], off
	global_load_dwordx4 v[20:23], v[20:21], off
	;; [unrolled: 1-line block ×6, first 2 shown]
	s_clause 0x1
	global_load_dwordx4 v[40:43], v168, s[12:13] offset:512
	global_load_dwordx4 v[44:47], v168, s[12:13] offset:640
	v_lshlrev_b64 v[48:49], 4, v[48:49]
	v_mov_b32_e32 v51, v54
	v_mad_u64_u32 v[53:54], null, s9, v165, v[53:54]
	v_mov_b32_e32 v54, v57
	v_lshlrev_b64 v[50:51], 4, v[50:51]
	v_add_co_u32 v48, s0, v75, v48
	v_mad_u64_u32 v[57:58], null, s9, v166, v[54:55]
	v_mov_b32_e32 v54, v69
	v_lshlrev_b64 v[60:61], 4, v[52:53]
	v_add_co_ci_u32_e64 v49, s0, v76, v49, s0
	v_add_co_u32 v58, s0, v75, v50
	v_mad_u64_u32 v[62:63], null, s9, v167, v[54:55]
	v_lshlrev_b64 v[73:74], 4, v[56:57]
	v_add_co_ci_u32_e64 v59, s0, v76, v51, s0
	v_add_co_u32 v70, s0, v75, v60
	v_add_co_ci_u32_e64 v71, s0, v76, v61, s0
	v_mov_b32_e32 v69, v62
	v_add_co_u32 v73, s0, v75, v73
	v_add_co_ci_u32_e64 v74, s0, v76, v74, s0
	v_lshlrev_b64 v[68:69], 4, v[68:69]
	s_clause 0x1
	global_load_dwordx4 v[48:51], v[48:49], off
	global_load_dwordx4 v[52:55], v[58:59], off
	s_clause 0x2
	global_load_dwordx4 v[56:59], v168, s[12:13] offset:768
	global_load_dwordx4 v[60:63], v168, s[12:13] offset:896
	;; [unrolled: 1-line block ×3, first 2 shown]
	v_add_co_u32 v85, s0, v75, v68
	v_add_co_ci_u32_e64 v86, s0, v76, v69, s0
	s_clause 0x1
	global_load_dwordx4 v[68:71], v[70:71], off
	global_load_dwordx4 v[73:76], v[73:74], off
	s_clause 0x1
	global_load_dwordx4 v[77:80], v168, s[12:13] offset:1152
	global_load_dwordx4 v[81:84], v168, s[12:13] offset:1280
	global_load_dwordx4 v[85:88], v[85:86], off
	s_waitcnt vmcnt(17)
	v_mul_f64 v[89:90], v[18:19], v[2:3]
	v_mul_f64 v[2:3], v[16:17], v[2:3]
	s_waitcnt vmcnt(16)
	v_mul_f64 v[91:92], v[22:23], v[6:7]
	v_mul_f64 v[6:7], v[20:21], v[6:7]
	;; [unrolled: 3-line block ×6, first 2 shown]
	v_fma_f64 v[14:15], v[16:17], v[0:1], v[89:90]
	v_fma_f64 v[16:17], v[18:19], v[0:1], -v[2:3]
	v_fma_f64 v[0:1], v[20:21], v[4:5], v[91:92]
	v_fma_f64 v[2:3], v[22:23], v[4:5], -v[6:7]
	;; [unrolled: 2-line block ×6, first 2 shown]
	v_lshl_add_u32 v12, v172, 4, v168
	s_waitcnt vmcnt(7)
	v_mul_f64 v[103:104], v[50:51], v[58:59]
	v_mul_f64 v[58:59], v[48:49], v[58:59]
	s_waitcnt vmcnt(6)
	v_mul_f64 v[105:106], v[54:55], v[62:63]
	v_mul_f64 v[62:63], v[52:53], v[62:63]
	s_waitcnt vmcnt(4)
	v_mul_f64 v[107:108], v[70:71], v[66:67]
	v_mul_f64 v[66:67], v[68:69], v[66:67]
	s_waitcnt vmcnt(2)
	v_mul_f64 v[109:110], v[75:76], v[79:80]
	v_mul_f64 v[79:80], v[73:74], v[79:80]
	s_waitcnt vmcnt(0)
	v_mul_f64 v[111:112], v[87:88], v[83:84]
	v_mul_f64 v[83:84], v[85:86], v[83:84]
	v_fma_f64 v[26:27], v[48:49], v[56:57], v[103:104]
	v_fma_f64 v[28:29], v[50:51], v[56:57], -v[58:59]
	v_fma_f64 v[30:31], v[52:53], v[60:61], v[105:106]
	v_fma_f64 v[32:33], v[54:55], v[60:61], -v[62:63]
	;; [unrolled: 2-line block ×5, first 2 shown]
	ds_write_b128 v169, v[14:17]
	ds_write_b128 v12, v[0:3] offset:128
	ds_write_b128 v12, v[4:7] offset:256
	;; [unrolled: 1-line block ×10, first 2 shown]
.LBB0_3:
	s_or_b32 exec_lo, exec_lo, s1
	s_load_dwordx2 s[0:1], s[4:5], 0x20
	v_lshlrev_b32_e32 v170, 4, v172
	s_waitcnt lgkmcnt(0)
	s_barrier
	buffer_gl0_inv
                                        ; implicit-def: $vgpr20_vgpr21
                                        ; implicit-def: $vgpr48_vgpr49
                                        ; implicit-def: $vgpr36_vgpr37
                                        ; implicit-def: $vgpr28_vgpr29
                                        ; implicit-def: $vgpr24_vgpr25
                                        ; implicit-def: $vgpr16_vgpr17
                                        ; implicit-def: $vgpr12_vgpr13
                                        ; implicit-def: $vgpr32_vgpr33
                                        ; implicit-def: $vgpr40_vgpr41
                                        ; implicit-def: $vgpr44_vgpr45
                                        ; implicit-def: $vgpr52_vgpr53
	s_and_saveexec_b32 s2, vcc_lo
	s_cbranch_execz .LBB0_5
; %bb.4:
	v_lshl_add_u32 v0, v157, 4, v170
	ds_read_b128 v[20:23], v169
	ds_read_b128 v[52:55], v0 offset:128
	ds_read_b128 v[48:51], v0 offset:256
	;; [unrolled: 1-line block ×10, first 2 shown]
.LBB0_5:
	s_or_b32 exec_lo, exec_lo, s2
	s_waitcnt lgkmcnt(0)
	v_add_f64 v[83:84], v[54:55], -v[14:15]
	v_add_f64 v[60:61], v[52:53], -v[12:13]
	s_mov_b32 s2, 0xf8bb580b
	s_mov_b32 s8, 0x8eee2c13
	;; [unrolled: 1-line block ×6, first 2 shown]
	v_add_f64 v[58:59], v[12:13], v[52:53]
	v_add_f64 v[81:82], v[14:15], v[54:55]
	v_add_f64 v[68:69], v[50:51], -v[18:19]
	v_add_f64 v[62:63], v[48:49], -v[16:17]
	s_mov_b32 s10, 0x8764f0ba
	s_mov_b32 s14, 0xd9c712b6
	;; [unrolled: 1-line block ×10, first 2 shown]
	v_mul_f64 v[70:71], v[83:84], s[2:3]
	v_mul_f64 v[73:74], v[60:61], s[2:3]
	;; [unrolled: 1-line block ×6, first 2 shown]
	v_add_f64 v[56:57], v[48:49], v[16:17]
	v_add_f64 v[79:80], v[50:51], v[18:19]
	v_add_f64 v[66:67], v[46:47], -v[26:27]
	v_add_f64 v[64:65], v[44:45], -v[24:25]
	v_mul_f64 v[117:118], v[68:69], s[8:9]
	v_mul_f64 v[121:122], v[62:63], s[8:9]
	;; [unrolled: 1-line block ×6, first 2 shown]
	s_mov_b32 s26, 0x7f775887
	s_mov_b32 s22, 0x9bcd5057
	;; [unrolled: 1-line block ×6, first 2 shown]
	v_fma_f64 v[0:1], v[58:59], s[10:11], v[70:71]
	v_fma_f64 v[2:3], v[81:82], s[10:11], -v[73:74]
	v_fma_f64 v[4:5], v[58:59], s[14:15], v[95:96]
	v_fma_f64 v[6:7], v[81:82], s[14:15], -v[107:108]
	;; [unrolled: 2-line block ×3, first 2 shown]
	v_add_f64 v[77:78], v[24:25], v[44:45]
	v_add_f64 v[141:142], v[26:27], v[46:47]
	v_add_f64 v[75:76], v[40:41], -v[28:29]
	v_add_f64 v[91:92], v[42:43], -v[30:31]
	v_mul_f64 v[97:98], v[66:67], s[16:17]
	v_mul_f64 v[99:100], v[64:65], s[16:17]
	;; [unrolled: 1-line block ×4, first 2 shown]
	v_fma_f64 v[111:112], v[56:57], s[14:15], v[117:118]
	v_fma_f64 v[113:114], v[79:80], s[14:15], -v[121:122]
	v_fma_f64 v[115:116], v[56:57], s[26:27], v[131:132]
	v_fma_f64 v[119:120], v[79:80], s[26:27], -v[147:148]
	v_mul_f64 v[127:128], v[66:67], s[18:19]
	v_fma_f64 v[129:130], v[56:57], s[22:23], v[123:124]
	v_mul_f64 v[143:144], v[64:65], s[18:19]
	v_fma_f64 v[135:136], v[79:80], s[22:23], -v[153:154]
	v_add_f64 v[0:1], v[20:21], v[0:1]
	v_add_f64 v[2:3], v[22:23], v[2:3]
	;; [unrolled: 1-line block ×6, first 2 shown]
	s_mov_b32 s31, 0x3fefac9e
	s_mov_b32 s30, s16
	v_add_f64 v[87:88], v[28:29], v[40:41]
	v_add_f64 v[145:146], v[30:31], v[42:43]
	v_add_f64 v[85:86], v[36:37], -v[32:33]
	v_add_f64 v[93:94], v[38:39], -v[34:35]
	v_mul_f64 v[101:102], v[91:92], s[34:35]
	v_mul_f64 v[105:106], v[75:76], s[34:35]
	v_fma_f64 v[139:140], v[77:78], s[20:21], v[97:98]
	v_fma_f64 v[173:174], v[141:142], s[20:21], -v[99:100]
	v_fma_f64 v[175:176], v[77:78], s[22:23], v[103:104]
	v_fma_f64 v[177:178], v[141:142], s[22:23], -v[109:110]
	v_mul_f64 v[125:126], v[75:76], s[30:31]
	v_mul_f64 v[133:134], v[91:92], s[2:3]
	v_fma_f64 v[179:180], v[77:78], s[14:15], v[127:128]
	v_mul_f64 v[137:138], v[75:76], s[2:3]
	v_add_f64 v[0:1], v[111:112], v[0:1]
	v_add_f64 v[2:3], v[113:114], v[2:3]
	;; [unrolled: 1-line block ×4, first 2 shown]
	v_mul_f64 v[119:120], v[91:92], s[30:31]
	v_add_f64 v[8:9], v[129:130], v[8:9]
	v_fma_f64 v[181:182], v[141:142], s[14:15], -v[143:144]
	v_add_f64 v[10:11], v[135:136], v[10:11]
	s_mov_b32 s29, 0xbfd207e7
	s_mov_b32 s37, 0x3fe14ced
	;; [unrolled: 1-line block ×4, first 2 shown]
	v_add_f64 v[89:90], v[36:37], v[32:33]
	v_add_f64 v[149:150], v[38:39], v[34:35]
	v_mul_f64 v[111:112], v[93:94], s[28:29]
	v_mul_f64 v[113:114], v[85:86], s[28:29]
	;; [unrolled: 1-line block ×3, first 2 shown]
	v_fma_f64 v[183:184], v[87:88], s[26:27], v[101:102]
	v_fma_f64 v[185:186], v[145:146], s[26:27], -v[105:106]
	v_mul_f64 v[129:130], v[85:86], s[36:37]
	v_mul_f64 v[135:136], v[93:94], s[34:35]
	s_load_dwordx2 s[4:5], s[4:5], 0x8
	v_add_f64 v[0:1], v[139:140], v[0:1]
	v_add_f64 v[2:3], v[173:174], v[2:3]
	;; [unrolled: 1-line block ×4, first 2 shown]
	v_mul_f64 v[139:140], v[85:86], s[34:35]
	v_fma_f64 v[173:174], v[87:88], s[20:21], v[119:120]
	v_fma_f64 v[175:176], v[145:146], s[20:21], -v[125:126]
	v_add_f64 v[8:9], v[179:180], v[8:9]
	v_fma_f64 v[177:178], v[87:88], s[10:11], v[133:134]
	v_fma_f64 v[179:180], v[145:146], s[10:11], -v[137:138]
	v_add_f64 v[10:11], v[181:182], v[10:11]
	v_mul_lo_u16 v171, v157, 11
	s_waitcnt lgkmcnt(0)
	s_barrier
	v_fma_f64 v[181:182], v[89:90], s[22:23], v[111:112]
	v_fma_f64 v[187:188], v[149:150], s[22:23], -v[113:114]
	v_fma_f64 v[189:190], v[89:90], s[10:11], v[115:116]
	buffer_gl0_inv
	v_fma_f64 v[191:192], v[149:150], s[10:11], -v[129:130]
	v_fma_f64 v[193:194], v[89:90], s[26:27], v[135:136]
	v_add_f64 v[0:1], v[183:184], v[0:1]
	v_add_f64 v[2:3], v[185:186], v[2:3]
	v_fma_f64 v[195:196], v[149:150], s[26:27], -v[139:140]
	v_add_f64 v[4:5], v[173:174], v[4:5]
	v_add_f64 v[6:7], v[175:176], v[6:7]
	v_add_f64 v[8:9], v[177:178], v[8:9]
	v_add_f64 v[10:11], v[179:180], v[10:11]
	v_add_f64 v[0:1], v[181:182], v[0:1]
	v_add_f64 v[2:3], v[187:188], v[2:3]
	v_add_f64 v[4:5], v[189:190], v[4:5]
	v_add_f64 v[6:7], v[191:192], v[6:7]
	v_add_f64 v[8:9], v[193:194], v[8:9]
	v_add_f64 v[10:11], v[195:196], v[10:11]
	s_and_saveexec_b32 s33, vcc_lo
	s_cbranch_execz .LBB0_7
; %bb.6:
	v_add_f64 v[52:53], v[20:21], v[52:53]
	v_mul_f64 v[173:174], v[81:82], s[22:23]
	v_add_f64 v[54:55], v[22:23], v[54:55]
	v_mul_f64 v[175:176], v[83:84], s[28:29]
	v_mul_f64 v[177:178], v[79:80], s[10:11]
	;; [unrolled: 1-line block ×4, first 2 shown]
	s_mov_b32 s39, 0x3fe82f19
	s_mov_b32 s38, s34
	v_mul_f64 v[181:182], v[58:59], s[10:11]
	v_mul_f64 v[185:186], v[81:82], s[26:27]
	;; [unrolled: 1-line block ×13, first 2 shown]
	v_add_f64 v[48:49], v[48:49], v[52:53]
	v_fma_f64 v[52:53], v[60:61], s[24:25], v[173:174]
	v_fma_f64 v[173:174], v[60:61], s[28:29], v[173:174]
	v_add_f64 v[50:51], v[50:51], v[54:55]
	v_fma_f64 v[54:55], v[58:59], s[22:23], v[175:176]
	v_fma_f64 v[175:176], v[58:59], s[22:23], -v[175:176]
	v_fma_f64 v[219:220], v[62:63], s[2:3], v[177:178]
	v_fma_f64 v[177:178], v[62:63], s[36:37], v[177:178]
	;; [unrolled: 1-line block ×3, first 2 shown]
	v_fma_f64 v[179:180], v[56:57], s[10:11], -v[179:180]
	v_fma_f64 v[237:238], v[64:65], s[38:39], v[183:184]
	v_fma_f64 v[183:184], v[64:65], s[34:35], v[183:184]
	v_mul_f64 v[211:212], v[79:80], s[22:23]
	v_mul_f64 v[79:80], v[79:80], s[20:21]
	v_fma_f64 v[239:240], v[77:78], s[26:27], v[187:188]
	v_fma_f64 v[187:188], v[77:78], s[26:27], -v[187:188]
	v_add_f64 v[107:108], v[107:108], v[193:194]
	v_add_f64 v[81:82], v[155:156], v[81:82]
	v_add_f64 v[95:96], v[191:192], -v[95:96]
	v_add_f64 v[73:74], v[73:74], v[189:190]
	v_add_f64 v[70:71], v[181:182], -v[70:71]
	v_mul_f64 v[205:206], v[56:57], s[26:27]
	v_add_f64 v[44:45], v[44:45], v[48:49]
	v_add_f64 v[48:49], v[22:23], v[52:53]
	;; [unrolled: 1-line block ×6, first 2 shown]
	v_fma_f64 v[181:182], v[75:76], s[18:19], v[201:202]
	v_mul_f64 v[209:210], v[56:57], s[22:23]
	v_mul_f64 v[68:69], v[68:69], s[30:31]
	;; [unrolled: 1-line block ×10, first 2 shown]
	v_add_f64 v[147:148], v[147:148], v[207:208]
	v_add_f64 v[81:82], v[22:23], v[81:82]
	;; [unrolled: 1-line block ×4, first 2 shown]
	v_add_f64 v[117:118], v[197:198], -v[117:118]
	v_add_f64 v[40:41], v[40:41], v[44:45]
	v_add_f64 v[44:45], v[219:220], v[48:49]
	;; [unrolled: 1-line block ×6, first 2 shown]
	v_fma_f64 v[177:178], v[60:61], s[38:39], v[185:186]
	v_fma_f64 v[60:61], v[60:61], s[34:35], v[185:186]
	v_fma_f64 v[179:180], v[58:59], s[26:27], v[83:84]
	v_fma_f64 v[58:59], v[58:59], s[26:27], -v[83:84]
	v_add_f64 v[83:84], v[195:196], -v[151:152]
	v_fma_f64 v[151:152], v[75:76], s[8:9], v[201:202]
	v_mul_f64 v[54:55], v[145:146], s[10:11]
	v_mul_f64 v[217:218], v[77:78], s[22:23]
	;; [unrolled: 1-line block ×3, first 2 shown]
	v_add_f64 v[123:124], v[209:210], -v[123:124]
	v_mul_f64 v[66:67], v[66:67], s[2:3]
	v_mul_f64 v[225:226], v[87:88], s[26:27]
	v_fma_f64 v[155:156], v[87:88], s[14:15], v[203:204]
	v_fma_f64 v[185:186], v[87:88], s[14:15], -v[203:204]
	v_add_f64 v[143:144], v[143:144], v[223:224]
	v_add_f64 v[109:110], v[109:110], v[173:174]
	;; [unrolled: 1-line block ×8, first 2 shown]
	v_mul_f64 v[50:51], v[145:146], s[22:23]
	v_fma_f64 v[145:146], v[62:63], s[16:17], v[79:80]
	v_fma_f64 v[62:63], v[62:63], s[30:31], v[79:80]
	v_add_f64 v[79:80], v[153:154], v[211:212]
	v_add_f64 v[153:154], v[22:23], v[177:178]
	;; [unrolled: 1-line block ×11, first 2 shown]
	v_mul_f64 v[229:230], v[87:88], s[20:21]
	v_add_f64 v[103:104], v[217:218], -v[103:104]
	v_add_f64 v[32:33], v[32:33], v[36:37]
	v_add_f64 v[36:37], v[151:152], v[40:41]
	;; [unrolled: 1-line block ×3, first 2 shown]
	v_add_f64 v[44:45], v[205:206], -v[131:132]
	v_fma_f64 v[151:152], v[56:57], s[20:21], -v[68:69]
	v_add_f64 v[34:35], v[34:35], v[38:39]
	v_fma_f64 v[56:57], v[56:57], s[20:21], v[68:69]
	v_fma_f64 v[68:69], v[64:65], s[36:37], v[141:142]
	;; [unrolled: 1-line block ×3, first 2 shown]
	v_add_f64 v[79:80], v[79:80], v[81:82]
	v_add_f64 v[145:146], v[145:146], v[153:154]
	v_mul_f64 v[233:234], v[87:88], s[10:11]
	v_add_f64 v[60:61], v[62:63], v[60:61]
	v_add_f64 v[127:128], v[175:176], -v[127:128]
	v_add_f64 v[83:84], v[123:124], v[83:84]
	v_mul_f64 v[91:92], v[91:92], s[28:29]
	v_add_f64 v[20:21], v[117:118], v[20:21]
	v_add_f64 v[22:23], v[70:71], v[22:23]
	v_add_f64 v[70:71], v[213:214], -v[97:98]
	v_fma_f64 v[175:176], v[77:78], s[10:11], -v[66:67]
	v_fma_f64 v[66:67], v[77:78], s[10:11], v[66:67]
	v_mul_f64 v[235:236], v[149:150], s[20:21]
	v_add_f64 v[28:29], v[28:29], v[32:33]
	v_mul_f64 v[52:53], v[93:94], s[16:17]
	v_mul_f64 v[48:49], v[89:90], s[22:23]
	v_add_f64 v[44:45], v[44:45], v[95:96]
	v_add_f64 v[58:59], v[151:152], v[58:59]
	;; [unrolled: 1-line block ×6, first 2 shown]
	v_mul_f64 v[46:47], v[149:150], s[22:23]
	v_mul_f64 v[121:122], v[149:150], s[10:11]
	;; [unrolled: 1-line block ×4, first 2 shown]
	v_add_f64 v[34:35], v[68:69], v[145:146]
	v_add_f64 v[68:69], v[143:144], v[79:80]
	;; [unrolled: 1-line block ×6, first 2 shown]
	v_add_f64 v[97:98], v[225:226], -v[101:102]
	v_add_f64 v[20:21], v[70:71], v[20:21]
	v_mul_f64 v[73:74], v[89:90], s[10:11]
	v_fma_f64 v[81:82], v[75:76], s[24:25], v[50:51]
	v_mul_f64 v[56:57], v[93:94], s[18:19]
	v_fma_f64 v[50:51], v[75:76], s[28:29], v[50:51]
	v_add_f64 v[60:61], v[64:65], v[60:61]
	v_add_f64 v[54:55], v[137:138], v[54:55]
	v_add_f64 v[93:94], v[229:230], -v[119:120]
	v_add_f64 v[44:45], v[103:104], v[44:45]
	v_mul_f64 v[131:132], v[89:90], s[26:27]
	v_add_f64 v[75:76], v[233:234], -v[133:134]
	v_add_f64 v[70:71], v[127:128], v[83:84]
	v_fma_f64 v[64:65], v[87:88], s[22:23], -v[91:92]
	v_add_f64 v[58:59], v[175:176], v[58:59]
	v_add_f64 v[26:27], v[26:27], v[30:31]
	v_add_f64 v[24:25], v[24:25], v[28:29]
	v_fma_f64 v[83:84], v[87:88], s[22:23], v[91:92]
	v_add_f64 v[28:29], v[66:67], v[32:33]
	v_fma_f64 v[62:63], v[85:86], s[30:31], v[235:236]
	v_fma_f64 v[153:154], v[89:90], s[20:21], v[52:53]
	;; [unrolled: 1-line block ×5, first 2 shown]
	v_add_f64 v[77:78], v[77:78], v[79:80]
	v_add_f64 v[46:47], v[113:114], v[46:47]
	;; [unrolled: 1-line block ×3, first 2 shown]
	v_add_f64 v[48:49], v[48:49], -v[111:112]
	v_add_f64 v[85:86], v[97:98], v[20:21]
	v_add_f64 v[81:82], v[81:82], v[34:35]
	;; [unrolled: 1-line block ×6, first 2 shown]
	v_add_f64 v[73:74], v[73:74], -v[115:116]
	v_add_f64 v[44:45], v[93:94], v[44:45]
	v_add_f64 v[60:61], v[131:132], -v[135:136]
	v_add_f64 v[70:71], v[75:76], v[70:71]
	v_fma_f64 v[50:51], v[89:90], s[14:15], -v[56:57]
	v_add_f64 v[58:59], v[64:65], v[58:59]
	v_fma_f64 v[52:53], v[89:90], s[20:21], -v[52:53]
	v_add_f64 v[64:65], v[18:19], v[26:27]
	v_add_f64 v[75:76], v[16:17], v[24:25]
	v_fma_f64 v[56:57], v[89:90], s[14:15], v[56:57]
	v_add_f64 v[83:84], v[83:84], v[28:29]
	v_add_f64 v[18:19], v[62:63], v[36:37]
	;; [unrolled: 1-line block ×10, first 2 shown]
	v_and_b32_e32 v44, 0xffff, v171
	v_add_f64 v[28:29], v[60:61], v[70:71]
	v_add_f64 v[24:25], v[50:51], v[58:59]
	;; [unrolled: 1-line block ×7, first 2 shown]
	v_add_lshl_u32 v44, v172, v44, 4
	ds_write_b128 v44, v[36:39] offset:16
	ds_write_b128 v44, v[32:35] offset:32
	;; [unrolled: 1-line block ×6, first 2 shown]
	ds_write_b128 v44, v[12:15]
	ds_write_b128 v44, v[40:43] offset:112
	ds_write_b128 v44, v[8:11] offset:128
	ds_write_b128 v44, v[4:7] offset:144
	ds_write_b128 v44, v[0:3] offset:160
.LBB0_7:
	s_or_b32 exec_lo, exec_lo, s33
	v_mad_u64_u32 v[28:29], null, 0x70, v157, s[4:5]
	s_load_dwordx4 s[0:3], s[0:1], 0x0
	s_waitcnt lgkmcnt(0)
	s_barrier
	buffer_gl0_inv
	v_add_lshl_u32 v84, v172, v157, 4
	s_mov_b32 s4, 0x667f3bcd
	s_clause 0x6
	global_load_dwordx4 v[20:23], v[28:29], off
	global_load_dwordx4 v[16:19], v[28:29], off offset:16
	global_load_dwordx4 v[12:15], v[28:29], off offset:48
	;; [unrolled: 1-line block ×6, first 2 shown]
	ds_read_b128 v[40:43], v84 offset:176
	ds_read_b128 v[44:47], v84 offset:352
	;; [unrolled: 1-line block ×7, first 2 shown]
	ds_read_b128 v[68:71], v84
	s_mov_b32 s5, 0xbfe6a09e
	s_mov_b32 s9, 0x3fe6a09e
	;; [unrolled: 1-line block ×3, first 2 shown]
	v_lshl_add_u32 v83, v157, 4, v170
	s_waitcnt vmcnt(6) lgkmcnt(7)
	v_mul_f64 v[73:74], v[42:43], v[22:23]
	v_mul_f64 v[75:76], v[40:41], v[22:23]
	s_waitcnt vmcnt(5) lgkmcnt(6)
	v_mul_f64 v[77:78], v[46:47], v[18:19]
	v_mul_f64 v[79:80], v[44:45], v[18:19]
	;; [unrolled: 3-line block ×7, first 2 shown]
	v_fma_f64 v[40:41], v[40:41], v[20:21], -v[73:74]
	v_fma_f64 v[42:43], v[42:43], v[20:21], v[75:76]
	v_fma_f64 v[44:45], v[44:45], v[16:17], -v[77:78]
	v_fma_f64 v[46:47], v[46:47], v[16:17], v[79:80]
	;; [unrolled: 2-line block ×7, first 2 shown]
	s_waitcnt lgkmcnt(0)
	v_add_f64 v[48:49], v[68:69], -v[48:49]
	v_add_f64 v[50:51], v[70:71], -v[50:51]
	;; [unrolled: 1-line block ×8, first 2 shown]
	v_fma_f64 v[68:69], v[68:69], 2.0, -v[48:49]
	v_fma_f64 v[70:71], v[70:71], 2.0, -v[50:51]
	;; [unrolled: 1-line block ×6, first 2 shown]
	v_add_f64 v[73:74], v[48:49], -v[54:55]
	v_add_f64 v[75:76], v[50:51], v[52:53]
	v_fma_f64 v[52:53], v[60:61], 2.0, -v[64:65]
	v_fma_f64 v[54:55], v[62:63], 2.0, -v[66:67]
	v_add_f64 v[60:61], v[56:57], -v[66:67]
	v_add_f64 v[62:63], v[58:59], v[64:65]
	v_add_f64 v[64:65], v[68:69], -v[44:45]
	v_add_f64 v[66:67], v[70:71], -v[46:47]
	v_fma_f64 v[77:78], v[48:49], 2.0, -v[73:74]
	v_fma_f64 v[79:80], v[50:51], 2.0, -v[75:76]
	v_add_f64 v[44:45], v[40:41], -v[52:53]
	v_add_f64 v[46:47], v[42:43], -v[54:55]
	v_fma_f64 v[54:55], v[56:57], 2.0, -v[60:61]
	v_fma_f64 v[52:53], v[58:59], 2.0, -v[62:63]
	v_fma_f64 v[56:57], v[60:61], s[8:9], v[73:74]
	v_fma_f64 v[58:59], v[62:63], s[8:9], v[75:76]
	v_fma_f64 v[68:69], v[68:69], 2.0, -v[64:65]
	v_fma_f64 v[70:71], v[70:71], 2.0, -v[66:67]
	;; [unrolled: 1-line block ×4, first 2 shown]
	v_fma_f64 v[81:82], v[54:55], s[4:5], v[77:78]
	v_fma_f64 v[85:86], v[52:53], s[4:5], v[79:80]
	v_add_f64 v[48:49], v[64:65], -v[46:47]
	v_add_f64 v[50:51], v[66:67], v[44:45]
	v_fma_f64 v[44:45], v[62:63], s[4:5], v[56:57]
	v_fma_f64 v[46:47], v[60:61], s[8:9], v[58:59]
	v_add_f64 v[56:57], v[68:69], -v[40:41]
	v_add_f64 v[58:59], v[70:71], -v[42:43]
	v_fma_f64 v[52:53], v[52:53], s[4:5], v[81:82]
	v_fma_f64 v[54:55], v[54:55], s[8:9], v[85:86]
	v_fma_f64 v[64:65], v[64:65], 2.0, -v[48:49]
	v_fma_f64 v[66:67], v[66:67], 2.0, -v[50:51]
	v_fma_f64 v[60:61], v[73:74], 2.0, -v[44:45]
	v_fma_f64 v[62:63], v[75:76], 2.0, -v[46:47]
	v_fma_f64 v[40:41], v[68:69], 2.0, -v[56:57]
	v_fma_f64 v[42:43], v[70:71], 2.0, -v[58:59]
	v_fma_f64 v[68:69], v[77:78], 2.0, -v[52:53]
	v_fma_f64 v[70:71], v[79:80], 2.0, -v[54:55]
	ds_write_b128 v83, v[48:51] offset:1056
	ds_write_b128 v83, v[44:47] offset:1232
	;; [unrolled: 1-line block ×6, first 2 shown]
	ds_write_b128 v83, v[40:43]
	ds_write_b128 v83, v[68:71] offset:176
	s_waitcnt lgkmcnt(0)
	s_barrier
	buffer_gl0_inv
	s_and_saveexec_b32 s8, vcc_lo
	s_cbranch_execz .LBB0_9
; %bb.8:
	global_load_dwordx4 v[73:76], v168, s[12:13] offset:1408
	s_add_u32 s4, s12, 0x580
	s_addc_u32 s5, s13, 0
	s_clause 0x9
	global_load_dwordx4 v[77:80], v168, s[4:5] offset:128
	global_load_dwordx4 v[85:88], v168, s[4:5] offset:256
	global_load_dwordx4 v[89:92], v168, s[4:5] offset:384
	global_load_dwordx4 v[93:96], v168, s[4:5] offset:512
	global_load_dwordx4 v[97:100], v168, s[4:5] offset:640
	global_load_dwordx4 v[101:104], v168, s[4:5] offset:768
	global_load_dwordx4 v[105:108], v168, s[4:5] offset:896
	global_load_dwordx4 v[109:112], v168, s[4:5] offset:1024
	global_load_dwordx4 v[113:116], v168, s[4:5] offset:1152
	global_load_dwordx4 v[117:120], v168, s[4:5] offset:1280
	ds_read_b128 v[121:124], v169
	s_waitcnt vmcnt(10) lgkmcnt(0)
	v_mul_f64 v[81:82], v[123:124], v[75:76]
	v_mul_f64 v[75:76], v[121:122], v[75:76]
	v_fma_f64 v[121:122], v[121:122], v[73:74], -v[81:82]
	v_fma_f64 v[123:124], v[123:124], v[73:74], v[75:76]
	ds_write_b128 v169, v[121:124]
	ds_read_b128 v[73:76], v83 offset:128
	ds_read_b128 v[121:124], v83 offset:256
	;; [unrolled: 1-line block ×10, first 2 shown]
	s_waitcnt vmcnt(9) lgkmcnt(9)
	v_mul_f64 v[81:82], v[75:76], v[79:80]
	v_mul_f64 v[79:80], v[73:74], v[79:80]
	s_waitcnt vmcnt(8) lgkmcnt(8)
	v_mul_f64 v[172:173], v[123:124], v[87:88]
	v_mul_f64 v[87:88], v[121:122], v[87:88]
	;; [unrolled: 3-line block ×10, first 2 shown]
	v_fma_f64 v[73:74], v[73:74], v[77:78], -v[81:82]
	v_fma_f64 v[75:76], v[75:76], v[77:78], v[79:80]
	v_fma_f64 v[77:78], v[121:122], v[85:86], -v[172:173]
	v_fma_f64 v[79:80], v[123:124], v[85:86], v[87:88]
	;; [unrolled: 2-line block ×10, first 2 shown]
	ds_write_b128 v83, v[73:76] offset:128
	ds_write_b128 v83, v[77:80] offset:256
	;; [unrolled: 1-line block ×10, first 2 shown]
.LBB0_9:
	s_or_b32 exec_lo, exec_lo, s8
	s_waitcnt lgkmcnt(0)
	s_barrier
	buffer_gl0_inv
	s_and_saveexec_b32 s4, vcc_lo
	s_cbranch_execz .LBB0_11
; %bb.10:
	ds_read_b128 v[40:43], v169
	ds_read_b128 v[68:71], v83 offset:128
	ds_read_b128 v[64:67], v83 offset:256
	ds_read_b128 v[60:63], v83 offset:384
	ds_read_b128 v[56:59], v83 offset:512
	ds_read_b128 v[52:55], v83 offset:640
	ds_read_b128 v[48:51], v83 offset:768
	ds_read_b128 v[44:47], v83 offset:896
	ds_read_b128 v[8:11], v83 offset:1024
	ds_read_b128 v[4:7], v83 offset:1152
	ds_read_b128 v[0:3], v83 offset:1280
.LBB0_11:
	s_or_b32 exec_lo, exec_lo, s4
	s_waitcnt lgkmcnt(0)
	s_barrier
	buffer_gl0_inv
	s_and_saveexec_b32 s33, vcc_lo
	s_cbranch_execz .LBB0_13
; %bb.12:
	v_add_f64 v[85:86], v[68:69], -v[0:1]
	v_add_f64 v[87:88], v[70:71], -v[2:3]
	s_mov_b32 s16, 0xfd768dbf
	s_mov_b32 s17, 0xbfd207e7
	v_add_f64 v[91:92], v[64:65], -v[4:5]
	v_add_f64 v[93:94], v[2:3], v[70:71]
	v_add_f64 v[95:96], v[66:67], -v[6:7]
	v_add_f64 v[97:98], v[0:1], v[68:69]
	s_mov_b32 s22, 0xbb3a28a1
	s_mov_b32 s18, 0xf8bb580b
	;; [unrolled: 1-line block ×6, first 2 shown]
	v_add_f64 v[103:104], v[60:61], -v[8:9]
	v_add_f64 v[107:108], v[66:67], v[6:7]
	v_add_f64 v[111:112], v[62:63], -v[10:11]
	v_add_f64 v[113:114], v[64:65], v[4:5]
	s_mov_b32 s24, 0x43842ef
	s_mov_b32 s14, 0x7f775887
	;; [unrolled: 1-line block ×4, first 2 shown]
	v_mul_f64 v[99:100], v[85:86], s[16:17]
	v_mul_f64 v[101:102], v[87:88], s[16:17]
	;; [unrolled: 1-line block ×3, first 2 shown]
	s_mov_b32 s15, 0xbfe4f49e
	v_mul_f64 v[115:116], v[91:92], s[18:19]
	s_mov_b32 s9, 0x3feaeb8c
	v_mul_f64 v[117:118], v[95:96], s[18:19]
	s_mov_b32 s29, 0x3fefac9e
	s_mov_b32 s28, s24
	v_add_f64 v[89:90], v[56:57], -v[44:45]
	v_add_f64 v[105:106], v[10:11], v[62:63]
	v_add_f64 v[123:124], v[58:59], -v[46:47]
	v_add_f64 v[125:126], v[8:9], v[60:61]
	v_mul_f64 v[135:136], v[87:88], s[22:23]
	v_mul_f64 v[131:132], v[103:104], s[22:23]
	;; [unrolled: 1-line block ×6, first 2 shown]
	s_mov_b32 s10, 0x640f44db
	s_mov_b32 s11, 0xbfc2375f
	;; [unrolled: 1-line block ×3, first 2 shown]
	v_fma_f64 v[119:120], v[93:94], s[4:5], v[99:100]
	v_fma_f64 v[121:122], v[97:98], s[4:5], -v[101:102]
	v_fma_f64 v[99:100], v[93:94], s[4:5], -v[99:100]
	v_fma_f64 v[101:102], v[97:98], s[4:5], v[101:102]
	v_fma_f64 v[137:138], v[107:108], s[8:9], v[115:116]
	v_fma_f64 v[115:116], v[107:108], s[8:9], -v[115:116]
	v_fma_f64 v[139:140], v[113:114], s[8:9], -v[117:118]
	v_fma_f64 v[117:118], v[113:114], s[8:9], v[117:118]
	v_fma_f64 v[172:173], v[93:94], s[14:15], v[127:128]
	s_mov_b32 s26, 0x8eee2c13
	s_mov_b32 s31, 0xbfe14ced
	;; [unrolled: 1-line block ×5, first 2 shown]
	v_add_f64 v[77:78], v[46:47], v[58:59]
	v_add_f64 v[109:110], v[54:55], -v[50:51]
	v_add_f64 v[81:82], v[44:45], v[56:57]
	v_add_f64 v[70:71], v[42:43], v[70:71]
	;; [unrolled: 1-line block ×3, first 2 shown]
	v_mul_f64 v[141:142], v[89:90], s[26:27]
	v_mul_f64 v[145:146], v[123:124], s[26:27]
	;; [unrolled: 1-line block ×3, first 2 shown]
	v_add_f64 v[119:120], v[42:43], v[119:120]
	v_add_f64 v[121:122], v[40:41], v[121:122]
	;; [unrolled: 1-line block ×4, first 2 shown]
	v_mul_f64 v[176:177], v[95:96], s[28:29]
	v_fma_f64 v[180:181], v[105:106], s[14:15], v[131:132]
	v_fma_f64 v[182:183], v[125:126], s[14:15], -v[133:134]
	v_fma_f64 v[131:132], v[105:106], s[14:15], -v[131:132]
	;; [unrolled: 1-line block ×4, first 2 shown]
	v_fma_f64 v[133:134], v[125:126], s[14:15], v[133:134]
	v_fma_f64 v[135:136], v[97:98], s[14:15], v[135:136]
	v_mul_f64 v[186:187], v[95:96], s[34:35]
	v_fma_f64 v[188:189], v[93:94], s[10:11], v[153:154]
	v_fma_f64 v[190:191], v[107:108], s[10:11], v[155:156]
	v_add_f64 v[172:173], v[42:43], v[172:173]
	v_fma_f64 v[196:197], v[97:98], s[10:11], -v[178:179]
	s_mov_b32 s20, 0xd9c712b6
	s_mov_b32 s21, 0x3fda9628
	v_add_f64 v[75:76], v[52:53], v[48:49]
	v_mul_f64 v[143:144], v[109:110], s[24:25]
	v_fma_f64 v[192:193], v[77:78], s[20:21], v[141:142]
	v_add_f64 v[119:120], v[137:138], v[119:120]
	v_add_f64 v[121:122], v[139:140], v[121:122]
	;; [unrolled: 1-line block ×4, first 2 shown]
	v_mul_f64 v[117:118], v[91:92], s[34:35]
	v_mul_f64 v[137:138], v[103:104], s[26:27]
	;; [unrolled: 1-line block ×3, first 2 shown]
	v_fma_f64 v[194:195], v[81:82], s[20:21], -v[145:146]
	v_fma_f64 v[141:142], v[77:78], s[20:21], -v[141:142]
	;; [unrolled: 1-line block ×4, first 2 shown]
	v_add_f64 v[127:128], v[42:43], v[127:128]
	v_add_f64 v[66:67], v[66:67], v[70:71]
	v_fma_f64 v[70:71], v[81:82], s[20:21], v[145:146]
	v_add_f64 v[135:136], v[40:41], v[135:136]
	v_add_f64 v[64:65], v[64:65], v[68:69]
	;; [unrolled: 1-line block ×5, first 2 shown]
	v_add_f64 v[79:80], v[52:53], -v[48:49]
	v_mul_f64 v[149:150], v[89:90], s[16:17]
	v_mul_f64 v[174:175], v[123:124], s[16:17]
	v_add_f64 v[119:120], v[180:181], v[119:120]
	v_add_f64 v[121:122], v[182:183], v[121:122]
	;; [unrolled: 1-line block ×3, first 2 shown]
	v_fma_f64 v[131:132], v[113:114], s[10:11], v[176:177]
	v_add_f64 v[101:102], v[133:134], v[101:102]
	v_fma_f64 v[133:134], v[107:108], s[4:5], v[117:118]
	v_fma_f64 v[176:177], v[105:106], s[8:9], v[151:152]
	v_fma_f64 v[182:183], v[113:114], s[4:5], -v[186:187]
	v_fma_f64 v[180:181], v[75:76], s[10:11], -v[143:144]
	;; [unrolled: 1-line block ×3, first 2 shown]
	v_add_f64 v[73:74], v[54:55], v[50:51]
	v_add_f64 v[127:128], v[155:156], v[127:128]
	;; [unrolled: 1-line block ×3, first 2 shown]
	v_fma_f64 v[117:118], v[107:108], s[4:5], -v[117:118]
	v_mul_f64 v[115:116], v[111:112], s[30:31]
	v_add_f64 v[60:61], v[60:61], v[64:65]
	v_add_f64 v[184:185], v[40:41], v[184:185]
	v_mul_f64 v[147:148], v[79:80], s[26:27]
	v_fma_f64 v[64:65], v[77:78], s[4:5], -v[149:150]
	v_mul_f64 v[129:130], v[79:80], s[24:25]
	v_add_f64 v[119:120], v[192:193], v[119:120]
	v_fma_f64 v[192:193], v[81:82], s[4:5], -v[174:175]
	v_add_f64 v[99:100], v[141:142], v[99:100]
	v_fma_f64 v[141:142], v[75:76], s[10:11], v[143:144]
	v_fma_f64 v[143:144], v[93:94], s[10:11], -v[153:154]
	v_add_f64 v[131:132], v[131:132], v[135:136]
	v_fma_f64 v[135:136], v[97:98], s[10:11], v[178:179]
	v_fma_f64 v[153:154], v[105:106], s[20:21], v[137:138]
	v_add_f64 v[133:134], v[133:134], v[145:146]
	v_add_f64 v[155:156], v[176:177], v[172:173]
	v_mul_f64 v[176:177], v[123:124], s[30:31]
	v_fma_f64 v[178:179], v[125:126], s[20:21], -v[139:140]
	v_add_f64 v[182:183], v[182:183], v[188:189]
	v_mul_f64 v[188:189], v[109:110], s[26:27]
	s_mov_b32 s27, 0xbfed1bb4
	v_fma_f64 v[145:146], v[77:78], s[4:5], v[149:150]
	v_add_f64 v[66:67], v[151:152], v[127:128]
	v_fma_f64 v[127:128], v[81:82], s[4:5], v[174:175]
	v_fma_f64 v[149:150], v[113:114], s[4:5], v[186:187]
	v_add_f64 v[58:59], v[58:59], v[62:63]
	v_add_f64 v[56:57], v[56:57], v[60:61]
	v_mul_f64 v[60:61], v[87:88], s[30:31]
	v_mul_f64 v[62:63], v[87:88], s[26:27]
	v_fma_f64 v[172:173], v[73:74], s[20:21], v[147:148]
	v_fma_f64 v[87:88], v[73:74], s[20:21], -v[147:148]
	v_fma_f64 v[139:140], v[125:126], s[20:21], v[139:140]
	v_add_f64 v[143:144], v[42:43], v[143:144]
	v_fma_f64 v[137:138], v[105:106], s[20:21], -v[137:138]
	v_add_f64 v[135:136], v[40:41], v[135:136]
	v_add_f64 v[70:71], v[70:71], v[101:102]
	;; [unrolled: 1-line block ×3, first 2 shown]
	v_mul_f64 v[153:154], v[85:86], s[26:27]
	v_fma_f64 v[174:175], v[81:82], s[8:9], -v[176:177]
	v_mul_f64 v[85:86], v[85:86], s[30:31]
	v_add_f64 v[178:179], v[178:179], v[182:183]
	v_fma_f64 v[182:183], v[75:76], s[20:21], -v[188:189]
	v_mul_f64 v[101:102], v[89:90], s[30:31]
	v_fma_f64 v[190:191], v[125:126], s[8:9], -v[115:116]
	v_add_f64 v[64:65], v[64:65], v[66:67]
	v_fma_f64 v[66:67], v[75:76], s[20:21], v[188:189]
	v_fma_f64 v[115:116], v[125:126], s[8:9], v[115:116]
	v_add_f64 v[54:55], v[54:55], v[58:59]
	v_add_f64 v[52:53], v[52:53], v[56:57]
	v_fma_f64 v[56:57], v[97:98], s[8:9], v[60:61]
	v_fma_f64 v[58:59], v[97:98], s[20:21], v[62:63]
	v_fma_f64 v[62:63], v[97:98], s[20:21], -v[62:63]
	v_fma_f64 v[60:61], v[97:98], s[8:9], -v[60:61]
	v_mul_f64 v[97:98], v[103:104], s[34:35]
	v_add_f64 v[117:118], v[117:118], v[143:144]
	v_mul_f64 v[143:144], v[91:92], s[22:23]
	v_add_f64 v[135:136], v[149:150], v[135:136]
	v_mul_f64 v[91:92], v[91:92], s[26:27]
	v_mul_f64 v[149:150], v[95:96], s[22:23]
	v_fma_f64 v[147:148], v[93:94], s[20:21], -v[153:154]
	v_mul_f64 v[95:96], v[95:96], s[26:27]
	v_fma_f64 v[153:154], v[93:94], s[20:21], v[153:154]
	v_add_f64 v[174:175], v[174:175], v[178:179]
	v_fma_f64 v[178:179], v[93:94], s[8:9], -v[85:86]
	v_fma_f64 v[85:86], v[93:94], s[8:9], v[85:86]
	v_mul_f64 v[103:104], v[103:104], s[24:25]
	v_add_f64 v[184:185], v[198:199], v[184:185]
	v_fma_f64 v[151:152], v[77:78], s[8:9], v[101:102]
	v_fma_f64 v[101:102], v[77:78], s[8:9], -v[101:102]
	v_add_f64 v[50:51], v[50:51], v[54:55]
	v_add_f64 v[48:49], v[48:49], v[52:53]
	;; [unrolled: 1-line block ×6, first 2 shown]
	v_mul_f64 v[60:61], v[89:90], s[28:29]
	v_add_f64 v[117:118], v[137:138], v[117:118]
	v_fma_f64 v[137:138], v[81:82], s[8:9], v[176:177]
	v_add_f64 v[93:94], v[139:140], v[135:136]
	v_fma_f64 v[139:140], v[107:108], s[14:15], -v[143:144]
	v_fma_f64 v[186:187], v[107:108], s[20:21], -v[91:92]
	v_add_f64 v[147:148], v[42:43], v[147:148]
	v_mul_f64 v[135:136], v[111:112], s[34:35]
	v_mul_f64 v[111:112], v[111:112], s[24:25]
	v_fma_f64 v[188:189], v[113:114], s[20:21], v[95:96]
	v_add_f64 v[178:179], v[42:43], v[178:179]
	v_fma_f64 v[176:177], v[113:114], s[14:15], v[149:150]
	v_fma_f64 v[56:57], v[107:108], s[14:15], v[143:144]
	v_add_f64 v[58:59], v[42:43], v[153:154]
	v_fma_f64 v[143:144], v[113:114], s[14:15], -v[149:150]
	v_fma_f64 v[91:92], v[107:108], s[20:21], v[91:92]
	v_add_f64 v[42:43], v[42:43], v[85:86]
	v_fma_f64 v[85:86], v[113:114], s[20:21], -v[95:96]
	v_fma_f64 v[107:108], v[105:106], s[4:5], -v[97:98]
	v_mul_f64 v[89:90], v[89:90], s[22:23]
	v_add_f64 v[46:47], v[46:47], v[50:51]
	v_add_f64 v[44:45], v[44:45], v[48:49]
	v_mul_f64 v[95:96], v[123:124], s[28:29]
	v_mul_f64 v[123:124], v[123:124], s[22:23]
	v_add_f64 v[115:116], v[115:116], v[131:132]
	v_mul_f64 v[131:132], v[79:80], s[22:23]
	v_add_f64 v[145:146], v[145:146], v[155:156]
	;; [unrolled: 2-line block ×3, first 2 shown]
	v_fma_f64 v[147:148], v[105:106], s[10:11], -v[103:104]
	v_fma_f64 v[153:154], v[125:126], s[10:11], v[111:112]
	v_add_f64 v[48:49], v[188:189], v[52:53]
	v_add_f64 v[149:150], v[186:187], v[178:179]
	v_fma_f64 v[139:140], v[125:126], s[4:5], v[135:136]
	v_add_f64 v[50:51], v[176:177], v[54:55]
	v_fma_f64 v[52:53], v[105:106], s[4:5], v[97:98]
	v_add_f64 v[54:55], v[56:57], v[58:59]
	v_fma_f64 v[56:57], v[125:126], s[4:5], -v[135:136]
	v_add_f64 v[58:59], v[143:144], v[62:63]
	v_fma_f64 v[62:63], v[105:106], s[10:11], v[103:104]
	v_add_f64 v[42:43], v[91:92], v[42:43]
	v_fma_f64 v[91:92], v[125:126], s[10:11], -v[111:112]
	v_add_f64 v[40:41], v[85:86], v[40:41]
	v_fma_f64 v[103:104], v[77:78], s[10:11], -v[60:61]
	v_fma_f64 v[111:112], v[77:78], s[14:15], -v[89:90]
	v_add_f64 v[10:11], v[10:11], v[46:47]
	v_add_f64 v[8:9], v[8:9], v[44:45]
	v_mul_f64 v[85:86], v[79:80], s[18:19]
	v_mul_f64 v[97:98], v[109:110], s[18:19]
	v_mul_f64 v[79:80], v[79:80], s[16:17]
	v_add_f64 v[105:106], v[107:108], v[113:114]
	v_mul_f64 v[109:110], v[109:110], s[16:17]
	v_fma_f64 v[125:126], v[81:82], s[14:15], v[123:124]
	v_add_f64 v[44:45], v[153:154], v[48:49]
	v_add_f64 v[113:114], v[147:148], v[149:150]
	v_fma_f64 v[107:108], v[81:82], s[10:11], v[95:96]
	v_add_f64 v[46:47], v[139:140], v[50:51]
	v_add_f64 v[184:185], v[190:191], v[184:185]
	v_fma_f64 v[48:49], v[77:78], s[10:11], v[60:61]
	v_add_f64 v[50:51], v[52:53], v[54:55]
	v_fma_f64 v[52:53], v[81:82], s[10:11], -v[95:96]
	v_add_f64 v[54:55], v[56:57], v[58:59]
	v_fma_f64 v[56:57], v[77:78], s[14:15], v[89:90]
	v_add_f64 v[42:43], v[62:63], v[42:43]
	v_fma_f64 v[58:59], v[81:82], s[14:15], -v[123:124]
	v_add_f64 v[40:41], v[91:92], v[40:41]
	v_add_f64 v[62:63], v[101:102], v[117:118]
	;; [unrolled: 1-line block ×3, first 2 shown]
	v_fma_f64 v[60:61], v[73:74], s[14:15], -v[131:132]
	v_fma_f64 v[89:90], v[73:74], s[8:9], -v[85:86]
	v_fma_f64 v[93:94], v[75:76], s[8:9], v[97:98]
	v_fma_f64 v[95:96], v[73:74], s[4:5], -v[79:80]
	v_add_f64 v[91:92], v[103:104], v[105:106]
	v_add_f64 v[105:106], v[6:7], v[10:11]
	v_fma_f64 v[103:104], v[75:76], s[4:5], v[109:110]
	v_add_f64 v[44:45], v[125:126], v[44:45]
	v_add_f64 v[101:102], v[111:112], v[113:114]
	;; [unrolled: 1-line block ×4, first 2 shown]
	v_fma_f64 v[77:78], v[75:76], s[14:15], v[155:156]
	v_add_f64 v[115:116], v[127:128], v[115:116]
	v_fma_f64 v[68:69], v[73:74], s[10:11], v[129:130]
	v_fma_f64 v[129:130], v[73:74], s[10:11], -v[129:130]
	v_add_f64 v[121:122], v[194:195], v[121:122]
	v_add_f64 v[184:185], v[192:193], v[184:185]
	v_fma_f64 v[127:128], v[73:74], s[14:15], v[131:132]
	v_add_f64 v[133:134], v[151:152], v[133:134]
	v_fma_f64 v[151:152], v[75:76], s[14:15], -v[155:156]
	v_fma_f64 v[85:86], v[73:74], s[8:9], v[85:86]
	v_add_f64 v[113:114], v[48:49], v[50:51]
	v_fma_f64 v[97:98], v[75:76], s[8:9], -v[97:98]
	v_add_f64 v[117:118], v[52:53], v[54:55]
	v_fma_f64 v[73:74], v[73:74], s[4:5], v[79:80]
	v_add_f64 v[79:80], v[56:57], v[42:43]
	v_fma_f64 v[75:76], v[75:76], s[4:5], -v[109:110]
	v_add_f64 v[109:110], v[58:59], v[40:41]
	v_add_f64 v[2:3], v[2:3], v[105:106]
	;; [unrolled: 1-line block ×23, first 2 shown]
	v_and_b32_e32 v73, 0xffff, v171
	v_lshl_add_u32 v73, v73, 4, v170
	ds_write_b128 v73, v[0:3]
	ds_write_b128 v73, v[56:59] offset:16
	ds_write_b128 v73, v[52:55] offset:32
	ds_write_b128 v73, v[48:51] offset:48
	ds_write_b128 v73, v[44:47] offset:64
	ds_write_b128 v73, v[8:11] offset:80
	ds_write_b128 v73, v[4:7] offset:96
	ds_write_b128 v73, v[40:43] offset:112
	ds_write_b128 v73, v[60:63] offset:128
	ds_write_b128 v73, v[64:67] offset:144
	ds_write_b128 v73, v[68:71] offset:160
.LBB0_13:
	s_or_b32 exec_lo, exec_lo, s33
	s_waitcnt lgkmcnt(0)
	s_barrier
	buffer_gl0_inv
	ds_read_b128 v[0:3], v84 offset:176
	ds_read_b128 v[4:7], v84 offset:352
	;; [unrolled: 1-line block ×7, first 2 shown]
	ds_read_b128 v[56:59], v84
	s_mov_b32 s4, 0x667f3bcd
	s_mov_b32 s5, 0xbfe6a09e
	;; [unrolled: 1-line block ×4, first 2 shown]
	s_waitcnt lgkmcnt(7)
	v_mul_f64 v[60:61], v[22:23], v[2:3]
	v_mul_f64 v[22:23], v[22:23], v[0:1]
	s_waitcnt lgkmcnt(6)
	v_mul_f64 v[62:63], v[18:19], v[6:7]
	v_mul_f64 v[18:19], v[18:19], v[4:5]
	;; [unrolled: 3-line block ×7, first 2 shown]
	v_fma_f64 v[0:1], v[20:21], v[0:1], v[60:61]
	v_fma_f64 v[2:3], v[20:21], v[2:3], -v[22:23]
	v_fma_f64 v[4:5], v[16:17], v[4:5], v[62:63]
	v_fma_f64 v[6:7], v[16:17], v[6:7], -v[18:19]
	;; [unrolled: 2-line block ×7, first 2 shown]
	s_waitcnt lgkmcnt(0)
	v_add_f64 v[8:9], v[56:57], -v[8:9]
	v_add_f64 v[10:11], v[58:59], -v[10:11]
	v_add_f64 v[12:13], v[4:5], -v[12:13]
	v_add_f64 v[14:15], v[6:7], -v[14:15]
	v_add_f64 v[16:17], v[0:1], -v[16:17]
	v_add_f64 v[18:19], v[2:3], -v[18:19]
	v_add_f64 v[24:25], v[20:21], -v[24:25]
	v_add_f64 v[26:27], v[22:23], -v[26:27]
	v_fma_f64 v[28:29], v[56:57], 2.0, -v[8:9]
	v_fma_f64 v[30:31], v[58:59], 2.0, -v[10:11]
	;; [unrolled: 1-line block ×6, first 2 shown]
	v_add_f64 v[32:33], v[8:9], v[14:15]
	v_add_f64 v[34:35], v[10:11], -v[12:13]
	v_fma_f64 v[12:13], v[20:21], 2.0, -v[24:25]
	v_fma_f64 v[14:15], v[22:23], 2.0, -v[26:27]
	v_add_f64 v[20:21], v[16:17], v[26:27]
	v_add_f64 v[22:23], v[18:19], -v[24:25]
	v_add_f64 v[24:25], v[28:29], -v[4:5]
	;; [unrolled: 1-line block ×3, first 2 shown]
	v_fma_f64 v[36:37], v[8:9], 2.0, -v[32:33]
	v_fma_f64 v[38:39], v[10:11], 2.0, -v[34:35]
	v_add_f64 v[4:5], v[0:1], -v[12:13]
	v_add_f64 v[6:7], v[2:3], -v[14:15]
	v_fma_f64 v[14:15], v[16:17], 2.0, -v[20:21]
	v_fma_f64 v[12:13], v[18:19], 2.0, -v[22:23]
	v_fma_f64 v[8:9], v[20:21], s[8:9], v[32:33]
	v_fma_f64 v[10:11], v[22:23], s[8:9], v[34:35]
	v_fma_f64 v[28:29], v[28:29], 2.0, -v[24:25]
	v_fma_f64 v[30:31], v[30:31], 2.0, -v[26:27]
	;; [unrolled: 1-line block ×4, first 2 shown]
	v_fma_f64 v[40:41], v[14:15], s[4:5], v[36:37]
	v_fma_f64 v[42:43], v[12:13], s[4:5], v[38:39]
	v_add_f64 v[0:1], v[24:25], v[6:7]
	v_add_f64 v[2:3], v[26:27], -v[4:5]
	v_fma_f64 v[4:5], v[22:23], s[8:9], v[8:9]
	v_fma_f64 v[6:7], v[20:21], s[4:5], v[10:11]
	v_add_f64 v[8:9], v[28:29], -v[16:17]
	v_add_f64 v[10:11], v[30:31], -v[18:19]
	v_fma_f64 v[12:13], v[12:13], s[8:9], v[40:41]
	v_fma_f64 v[14:15], v[14:15], s[4:5], v[42:43]
	v_fma_f64 v[16:17], v[24:25], 2.0, -v[0:1]
	v_fma_f64 v[18:19], v[26:27], 2.0, -v[2:3]
	;; [unrolled: 1-line block ×8, first 2 shown]
	ds_write_b128 v83, v[0:3] offset:1056
	ds_write_b128 v83, v[4:7] offset:1232
	;; [unrolled: 1-line block ×6, first 2 shown]
	ds_write_b128 v83, v[24:27]
	ds_write_b128 v83, v[28:31] offset:176
	s_waitcnt lgkmcnt(0)
	s_barrier
	buffer_gl0_inv
	s_and_b32 exec_lo, exec_lo, vcc_lo
	s_cbranch_execz .LBB0_15
; %bb.14:
	s_clause 0xa
	global_load_dwordx4 v[0:3], v168, s[12:13]
	global_load_dwordx4 v[4:7], v168, s[12:13] offset:128
	global_load_dwordx4 v[8:11], v168, s[12:13] offset:256
	global_load_dwordx4 v[12:15], v168, s[12:13] offset:384
	global_load_dwordx4 v[16:19], v168, s[12:13] offset:512
	global_load_dwordx4 v[20:23], v168, s[12:13] offset:640
	global_load_dwordx4 v[24:27], v168, s[12:13] offset:768
	global_load_dwordx4 v[28:31], v168, s[12:13] offset:896
	global_load_dwordx4 v[32:35], v168, s[12:13] offset:1024
	global_load_dwordx4 v[36:39], v168, s[12:13] offset:1152
	global_load_dwordx4 v[40:43], v168, s[12:13] offset:1280
	ds_read_b128 v[44:47], v169
	ds_read_b128 v[48:51], v83 offset:128
	ds_read_b128 v[52:55], v83 offset:256
	;; [unrolled: 1-line block ×10, first 2 shown]
	v_mad_u64_u32 v[92:93], null, s0, v157, 0
	v_mad_u64_u32 v[94:95], null, s0, v158, 0
	;; [unrolled: 1-line block ×12, first 2 shown]
	v_mov_b32_e32 v83, v93
	v_mov_b32_e32 v93, v95
	v_mov_b32_e32 v95, v97
	v_mov_b32_e32 v97, v99
	v_mov_b32_e32 v99, v101
	v_mov_b32_e32 v101, v103
	v_mov_b32_e32 v103, v105
	v_mov_b32_e32 v105, v107
	v_mov_b32_e32 v107, v109
	v_mov_b32_e32 v109, v111
	v_mov_b32_e32 v111, v113
	v_mad_u64_u32 v[113:114], null, s3, v72, v[82:83]
	s_waitcnt lgkmcnt(1)
	v_mad_u64_u32 v[114:115], null, s1, v157, v[83:84]
	v_mad_u64_u32 v[115:116], null, s1, v158, v[93:94]
	;; [unrolled: 1-line block ×11, first 2 shown]
	v_mov_b32_e32 v82, v113
	v_mov_b32_e32 v93, v114
	;; [unrolled: 1-line block ×5, first 2 shown]
	v_lshlrev_b64 v[81:82], 4, v[81:82]
	v_mov_b32_e32 v113, v124
	v_mov_b32_e32 v101, v118
	;; [unrolled: 1-line block ×5, first 2 shown]
	v_add_co_u32 v72, vcc_lo, s6, v81
	v_add_co_ci_u32_e32 v83, vcc_lo, s7, v82, vcc_lo
	v_lshlrev_b64 v[81:82], 4, v[112:113]
	v_mov_b32_e32 v109, v122
	v_mov_b32_e32 v111, v123
	v_lshlrev_b64 v[92:93], 4, v[92:93]
	v_lshlrev_b64 v[94:95], 4, v[94:95]
	;; [unrolled: 1-line block ×5, first 2 shown]
	s_mov_b32 s4, 0x745d1746
	v_add_co_u32 v92, vcc_lo, v72, v92
	v_add_co_ci_u32_e32 v93, vcc_lo, v83, v93, vcc_lo
	v_add_co_u32 v94, vcc_lo, v72, v94
	v_add_co_ci_u32_e32 v95, vcc_lo, v83, v95, vcc_lo
	v_add_co_u32 v96, vcc_lo, v72, v96
	s_mov_b32 s5, 0x3f8745d1
	v_add_co_ci_u32_e32 v97, vcc_lo, v83, v97, vcc_lo
	v_lshlrev_b64 v[102:103], 4, v[102:103]
	v_add_co_u32 v98, vcc_lo, v72, v98
	v_add_co_ci_u32_e32 v99, vcc_lo, v83, v99, vcc_lo
	v_lshlrev_b64 v[104:105], 4, v[104:105]
	v_add_co_u32 v100, vcc_lo, v72, v100
	;; [unrolled: 3-line block ×5, first 2 shown]
	v_add_co_ci_u32_e32 v107, vcc_lo, v83, v107, vcc_lo
	s_waitcnt vmcnt(10)
	v_mul_f64 v[112:113], v[46:47], v[2:3]
	v_mul_f64 v[2:3], v[44:45], v[2:3]
	s_waitcnt vmcnt(9)
	v_mul_f64 v[114:115], v[50:51], v[6:7]
	v_mul_f64 v[6:7], v[48:49], v[6:7]
	;; [unrolled: 3-line block ×10, first 2 shown]
	s_waitcnt vmcnt(0) lgkmcnt(0)
	v_mul_f64 v[132:133], v[90:91], v[42:43]
	v_mul_f64 v[42:43], v[88:89], v[42:43]
	v_fma_f64 v[44:45], v[44:45], v[0:1], v[112:113]
	v_fma_f64 v[2:3], v[0:1], v[46:47], -v[2:3]
	v_fma_f64 v[46:47], v[48:49], v[4:5], v[114:115]
	v_fma_f64 v[6:7], v[4:5], v[50:51], -v[6:7]
	v_fma_f64 v[48:49], v[52:53], v[8:9], v[116:117]
	v_fma_f64 v[10:11], v[8:9], v[54:55], -v[10:11]
	v_fma_f64 v[50:51], v[56:57], v[12:13], v[118:119]
	v_fma_f64 v[14:15], v[12:13], v[58:59], -v[14:15]
	v_fma_f64 v[52:53], v[60:61], v[16:17], v[120:121]
	v_fma_f64 v[18:19], v[16:17], v[62:63], -v[18:19]
	v_fma_f64 v[54:55], v[64:65], v[20:21], v[122:123]
	v_fma_f64 v[22:23], v[20:21], v[66:67], -v[22:23]
	v_fma_f64 v[56:57], v[68:69], v[24:25], v[124:125]
	v_fma_f64 v[26:27], v[24:25], v[70:71], -v[26:27]
	v_fma_f64 v[58:59], v[73:74], v[28:29], v[126:127]
	v_fma_f64 v[30:31], v[28:29], v[75:76], -v[30:31]
	v_fma_f64 v[60:61], v[77:78], v[32:33], v[128:129]
	v_fma_f64 v[34:35], v[32:33], v[79:80], -v[34:35]
	v_fma_f64 v[62:63], v[84:85], v[36:37], v[130:131]
	v_fma_f64 v[38:39], v[36:37], v[86:87], -v[38:39]
	v_fma_f64 v[64:65], v[88:89], v[40:41], v[132:133]
	v_fma_f64 v[42:43], v[40:41], v[90:91], -v[42:43]
	v_mul_f64 v[0:1], v[44:45], s[4:5]
	v_mul_f64 v[2:3], v[2:3], s[4:5]
	;; [unrolled: 1-line block ×22, first 2 shown]
	v_add_co_u32 v44, vcc_lo, v72, v108
	v_add_co_ci_u32_e32 v45, vcc_lo, v83, v109, vcc_lo
	v_add_co_u32 v46, vcc_lo, v72, v110
	v_add_co_ci_u32_e32 v47, vcc_lo, v83, v111, vcc_lo
	;; [unrolled: 2-line block ×3, first 2 shown]
	global_store_dwordx4 v[92:93], v[0:3], off
	global_store_dwordx4 v[94:95], v[4:7], off
	;; [unrolled: 1-line block ×11, first 2 shown]
.LBB0_15:
	s_endpgm
	.section	.rodata,"a",@progbits
	.p2align	6, 0x0
	.amdhsa_kernel bluestein_single_fwd_len88_dim1_dp_op_CI_CI
		.amdhsa_group_segment_fixed_size 15488
		.amdhsa_private_segment_fixed_size 0
		.amdhsa_kernarg_size 104
		.amdhsa_user_sgpr_count 6
		.amdhsa_user_sgpr_private_segment_buffer 1
		.amdhsa_user_sgpr_dispatch_ptr 0
		.amdhsa_user_sgpr_queue_ptr 0
		.amdhsa_user_sgpr_kernarg_segment_ptr 1
		.amdhsa_user_sgpr_dispatch_id 0
		.amdhsa_user_sgpr_flat_scratch_init 0
		.amdhsa_user_sgpr_private_segment_size 0
		.amdhsa_wavefront_size32 1
		.amdhsa_uses_dynamic_stack 0
		.amdhsa_system_sgpr_private_segment_wavefront_offset 0
		.amdhsa_system_sgpr_workgroup_id_x 1
		.amdhsa_system_sgpr_workgroup_id_y 0
		.amdhsa_system_sgpr_workgroup_id_z 0
		.amdhsa_system_sgpr_workgroup_info 0
		.amdhsa_system_vgpr_workitem_id 0
		.amdhsa_next_free_vgpr 241
		.amdhsa_next_free_sgpr 40
		.amdhsa_reserve_vcc 1
		.amdhsa_reserve_flat_scratch 0
		.amdhsa_float_round_mode_32 0
		.amdhsa_float_round_mode_16_64 0
		.amdhsa_float_denorm_mode_32 3
		.amdhsa_float_denorm_mode_16_64 3
		.amdhsa_dx10_clamp 1
		.amdhsa_ieee_mode 1
		.amdhsa_fp16_overflow 0
		.amdhsa_workgroup_processor_mode 1
		.amdhsa_memory_ordered 1
		.amdhsa_forward_progress 0
		.amdhsa_shared_vgpr_count 0
		.amdhsa_exception_fp_ieee_invalid_op 0
		.amdhsa_exception_fp_denorm_src 0
		.amdhsa_exception_fp_ieee_div_zero 0
		.amdhsa_exception_fp_ieee_overflow 0
		.amdhsa_exception_fp_ieee_underflow 0
		.amdhsa_exception_fp_ieee_inexact 0
		.amdhsa_exception_int_div_zero 0
	.end_amdhsa_kernel
	.text
.Lfunc_end0:
	.size	bluestein_single_fwd_len88_dim1_dp_op_CI_CI, .Lfunc_end0-bluestein_single_fwd_len88_dim1_dp_op_CI_CI
                                        ; -- End function
	.section	.AMDGPU.csdata,"",@progbits
; Kernel info:
; codeLenInByte = 11200
; NumSgprs: 42
; NumVgprs: 241
; ScratchSize: 0
; MemoryBound: 0
; FloatMode: 240
; IeeeMode: 1
; LDSByteSize: 15488 bytes/workgroup (compile time only)
; SGPRBlocks: 5
; VGPRBlocks: 30
; NumSGPRsForWavesPerEU: 42
; NumVGPRsForWavesPerEU: 241
; Occupancy: 4
; WaveLimiterHint : 1
; COMPUTE_PGM_RSRC2:SCRATCH_EN: 0
; COMPUTE_PGM_RSRC2:USER_SGPR: 6
; COMPUTE_PGM_RSRC2:TRAP_HANDLER: 0
; COMPUTE_PGM_RSRC2:TGID_X_EN: 1
; COMPUTE_PGM_RSRC2:TGID_Y_EN: 0
; COMPUTE_PGM_RSRC2:TGID_Z_EN: 0
; COMPUTE_PGM_RSRC2:TIDIG_COMP_CNT: 0
	.text
	.p2alignl 6, 3214868480
	.fill 48, 4, 3214868480
	.type	__hip_cuid_1c16dd3e53a9c9ac,@object ; @__hip_cuid_1c16dd3e53a9c9ac
	.section	.bss,"aw",@nobits
	.globl	__hip_cuid_1c16dd3e53a9c9ac
__hip_cuid_1c16dd3e53a9c9ac:
	.byte	0                               ; 0x0
	.size	__hip_cuid_1c16dd3e53a9c9ac, 1

	.ident	"AMD clang version 19.0.0git (https://github.com/RadeonOpenCompute/llvm-project roc-6.4.0 25133 c7fe45cf4b819c5991fe208aaa96edf142730f1d)"
	.section	".note.GNU-stack","",@progbits
	.addrsig
	.addrsig_sym __hip_cuid_1c16dd3e53a9c9ac
	.amdgpu_metadata
---
amdhsa.kernels:
  - .args:
      - .actual_access:  read_only
        .address_space:  global
        .offset:         0
        .size:           8
        .value_kind:     global_buffer
      - .actual_access:  read_only
        .address_space:  global
        .offset:         8
        .size:           8
        .value_kind:     global_buffer
      - .actual_access:  read_only
        .address_space:  global
        .offset:         16
        .size:           8
        .value_kind:     global_buffer
      - .actual_access:  read_only
        .address_space:  global
        .offset:         24
        .size:           8
        .value_kind:     global_buffer
      - .actual_access:  read_only
        .address_space:  global
        .offset:         32
        .size:           8
        .value_kind:     global_buffer
      - .offset:         40
        .size:           8
        .value_kind:     by_value
      - .address_space:  global
        .offset:         48
        .size:           8
        .value_kind:     global_buffer
      - .address_space:  global
        .offset:         56
        .size:           8
        .value_kind:     global_buffer
      - .address_space:  global
        .offset:         64
        .size:           8
        .value_kind:     global_buffer
      - .address_space:  global
        .offset:         72
        .size:           8
        .value_kind:     global_buffer
      - .offset:         80
        .size:           4
        .value_kind:     by_value
      - .address_space:  global
        .offset:         88
        .size:           8
        .value_kind:     global_buffer
      - .address_space:  global
        .offset:         96
        .size:           8
        .value_kind:     global_buffer
    .group_segment_fixed_size: 15488
    .kernarg_segment_align: 8
    .kernarg_segment_size: 104
    .language:       OpenCL C
    .language_version:
      - 2
      - 0
    .max_flat_workgroup_size: 121
    .name:           bluestein_single_fwd_len88_dim1_dp_op_CI_CI
    .private_segment_fixed_size: 0
    .sgpr_count:     42
    .sgpr_spill_count: 0
    .symbol:         bluestein_single_fwd_len88_dim1_dp_op_CI_CI.kd
    .uniform_work_group_size: 1
    .uses_dynamic_stack: false
    .vgpr_count:     241
    .vgpr_spill_count: 0
    .wavefront_size: 32
    .workgroup_processor_mode: 1
amdhsa.target:   amdgcn-amd-amdhsa--gfx1030
amdhsa.version:
  - 1
  - 2
...

	.end_amdgpu_metadata
